;; amdgpu-corpus repo=ROCm/aiter kind=harvested arch=n/a opt=n/a

/root/src/amdgpu-assembly/repos/ROCm__aiter/hsa/gfx942/fmha_v3_bwd/bwd_hd192_dq_convert_bf16_rtne_group.co:	file format elf64-amdgpu

Disassembly of section .text:

0000000000002100 <_ZN5aiter41fmha_bwd_hd192_dq_convert_bf16_rtne_groupE>:
	s_and_b32 s1, s1, 0xffff                                   // 000000002100: 8601FF01 0000FFFF
	s_load_dwordx2 s[12:13], s[0:1], 0x0                       // 000000002108: C0060300 00000000
	s_load_dwordx2 s[16:17], s[0:1], 0x10                      // 000000002110: C0060400 00000010
	s_load_dword s6, s[0:1], 0x20                              // 000000002118: C0020180 00000020
	s_load_dword s8, s[0:1], 0x40                              // 000000002120: C0020200 00000040
	s_load_dword s9, s[0:1], 0x50                              // 000000002128: C0020240 00000050
	s_load_dword s11, s[0:1], 0x70                             // 000000002130: C00202C0 00000070
	s_load_dword s34, s[0:1], 0x90                             // 000000002138: C0020880 00000090
	s_load_dwordx2 s[40:41], s[0:1], 0xa0                      // 000000002140: C0060A00 000000A0
	s_load_dwordx2 s[44:45], s[0:1], 0xb0                      // 000000002148: C0060B00 000000B0
	v_lshrrev_b32_e32 v1, 10, v0                               // 000000002150: 2002008A
	v_lshrrev_b32_e32 v2, 10, v1                               // 000000002154: 2004028A
	v_and_b32_e32 v2, 0x3ff, v2                                // 000000002158: 260404FF 000003FF
	v_and_b32_e32 v1, 0x3ff, v1                                // 000000002160: 260202FF 000003FF
	v_and_b32_e32 v0, 0x3ff, v0                                // 000000002168: 260000FF 000003FF
	v_lshrrev_b32_e32 v3, 6, v0                                // 000000002170: 20060086
	v_and_b32_e32 v0, 63, v0                                   // 000000002174: 260000BF
	s_mov_b32 s2, s2                                           // 000000002178: BE820002
	s_mov_b32 s3, s3                                           // 00000000217C: BE830003
	s_mov_b32 s4, s4                                           // 000000002180: BE840004
	v_readfirstlane_b32 s24, v3                                // 000000002184: 7E300503
	s_waitcnt lgkmcnt(0)                                       // 000000002188: BF8CC07F
	s_mul_i32 s25, s4, 4                                       // 00000000218C: 92198404
	s_add_u32 s40, s25, s40                                    // 000000002190: 80282819
	s_addc_u32 s41, 0, s41                                     // 000000002194: 82292980
	s_load_dwordx2 s[42:43], s[40:41], 0x0                     // 000000002198: C0060A94 00000000
	s_add_u32 s44, s25, s44                                    // 0000000021A0: 802C2C19
	s_addc_u32 s45, 0, s45                                     // 0000000021A4: 822D2D80
	s_load_dword s46, s[44:45], 0x0                            // 0000000021A8: C0020B96 00000000
	s_mov_b32 s15, 0x20000                                     // 0000000021B0: BE8F00FF 00020000
	s_mov_b32 s19, 0x20000                                     // 0000000021B8: BE9300FF 00020000
	s_and_b32 s13, s13, 0xffff                                 // 0000000021C0: 860DFF0D 0000FFFF
	s_and_b32 s17, s17, 0xffff                                 // 0000000021C8: 8611FF11 0000FFFF
	s_or_b32 s13, s13, 0x40000                                 // 0000000021D0: 870DFF0D 00040000
	s_or_b32 s17, s17, 0x40000                                 // 0000000021D8: 8711FF11 00040000
	v_mov_b32_e32 v33, 0                                       // 0000000021E0: 7E420280
	s_mov_b32 s20, s12                                         // 0000000021E4: BE94000C
	s_mov_b32 s21, s13                                         // 0000000021E8: BE95000D
	s_mov_b32 s22, s16                                         // 0000000021EC: BE960010
	s_mov_b32 s23, s17                                         // 0000000021F0: BE970011
	s_waitcnt lgkmcnt(0)                                       // 0000000021F4: BF8CC07F
	s_mul_i32 s25, s2, 64                                      // 0000000021F8: 9219C002
	s_sub_i32 s35, s43, s42                                    // 0000000021FC: 81A32A2B
	s_mov_b32 s42, s46                                         // 000000002200: BEAA002E
	s_cmp_ge_i32 s25, s35                                      // 000000002204: BF032319
	s_cbranch_scc1 label_04EF                                  // 000000002208: BF8504AC
	s_mov_b32 s38, 0x7060302                                   // 00000000220C: BEA600FF 07060302
	s_mul_i32 s25, s8, 64                                      // 000000002214: 9219C008
	s_mul_i32 s25, s2, s25                                     // 000000002218: 92191902
	s_mul_i32 s26, s35, s8                                     // 00000000221C: 921A0823
	s_sub_i32 s26, s26, s25                                    // 000000002220: 819A191A
	s_mov_b32 s14, s26                                         // 000000002224: BE8E001A
	s_add_u32 s12, s25, s20                                    // 000000002228: 800C1419
	s_addc_u32 s13, 0, s21                                     // 00000000222C: 820D1580
	s_mul_i32 s25, s3, s6                                      // 000000002230: 92190603
	s_mul_hi_u32 s26, s3, s6                                   // 000000002234: 961A0603
	s_and_b32 s26, s26, 0xffff                                 // 000000002238: 861AFF1A 0000FFFF
	s_add_u32 s12, s12, s25                                    // 000000002240: 800C190C
	s_addc_u32 s13, s13, s26                                   // 000000002244: 820D1A0D
	s_mul_i32 s25, s42, s8                                     // 000000002248: 9219082A
	s_mul_hi_u32 s26, s42, s8                                  // 00000000224C: 961A082A
	s_and_b32 s26, s26, 0xffff                                 // 000000002250: 861AFF1A 0000FFFF
	s_add_u32 s12, s12, s25                                    // 000000002258: 800C190C
	s_addc_u32 s13, s13, s26                                   // 00000000225C: 820D1A0D
	s_mul_i32 s25, s11, 64                                     // 000000002260: 9219C00B
	s_mul_i32 s25, s2, s25                                     // 000000002264: 92191902
	s_mul_i32 s26, s35, s11                                    // 000000002268: 921A0B23
	s_sub_i32 s26, s26, s25                                    // 00000000226C: 819A191A
	s_mov_b32 s18, s26                                         // 000000002270: BE92001A
	s_add_u32 s16, s25, s22                                    // 000000002274: 80101619
	s_addc_u32 s17, 0, s23                                     // 000000002278: 82111780
	s_mul_i32 s25, s3, s9                                      // 00000000227C: 92190903
	s_mul_hi_u32 s26, s3, s9                                   // 000000002280: 961A0903
	s_and_b32 s26, s26, 0xffff                                 // 000000002284: 861AFF1A 0000FFFF
	s_add_u32 s16, s16, s25                                    // 00000000228C: 80101910
	s_addc_u32 s17, s17, s26                                   // 000000002290: 82111A11
	s_mul_i32 s25, s42, s11                                    // 000000002294: 92190B2A
	s_mul_hi_u32 s26, s42, s11                                 // 000000002298: 961A0B2A
	s_and_b32 s26, s26, 0xffff                                 // 00000000229C: 861AFF1A 0000FFFF
	s_add_u32 s16, s16, s25                                    // 0000000022A4: 80101910
	s_addc_u32 s17, s17, s26                                   // 0000000022A8: 82111A11
	v_readfirstlane_b32 s24, v3                                // 0000000022AC: 7E300503
	v_lshrrev_b32_e32 v26, 4, v0                               // 0000000022B0: 20340084
	v_mul_i32_i24_e32 v26, s8, v26                             // 0000000022B4: 0C343408
	v_and_b32_e32 v27, 15, v0                                  // 0000000022B8: 2636008F
	v_mul_i32_i24_e32 v27, 16, v27                             // 0000000022BC: 0C363690
	v_add_u32_e32 v27, v26, v27                                // 0000000022C0: 6836371A
	v_mov_b32_e32 v4, v27                                      // 0000000022C4: 7E08031B
	s_mul_i32 s25, 16, s8                                      // 0000000022C8: 92190890
	s_mul_i32 s25, s24, s25                                    // 0000000022CC: 92191918
	v_add_u32_e32 v4, s25, v4                                  // 0000000022D0: 68080819
	v_mov_b32_e32 v6, 0                                        // 0000000022D4: 7E0C0280
	v_lshrrev_b32_e32 v26, 5, v0                               // 0000000022D8: 20340085
	v_lshlrev_b32_e32 v26, 1, v26                              // 0000000022DC: 24343481
	v_mul_i32_i24_e32 v26, s11, v26                            // 0000000022E0: 0C34340B
	v_and_b32_e32 v27, 15, v0                                  // 0000000022E4: 2636008F
	v_lshlrev_b32_e32 v27, 3, v27                              // 0000000022E8: 24363683
	v_and_b32_e32 v28, 31, v0                                  // 0000000022EC: 2638009F
	v_lshrrev_b32_e32 v28, 4, v28                              // 0000000022F0: 20383884
	v_lshlrev_b32_e32 v28, 2, v28                              // 0000000022F4: 24383882
	v_add_u32_e32 v6, v26, v6                                  // 0000000022F8: 680C0D1A
	v_add_u32_e32 v6, v27, v6                                  // 0000000022FC: 680C0D1B
	v_add_u32_e32 v6, v28, v6                                  // 000000002300: 680C0D1C
	s_mul_i32 s25, 16, s11                                     // 000000002304: 92190B90
	s_mul_i32 s25, s24, s25                                    // 000000002308: 92191918
	v_add_u32_e32 v6, s25, v6                                  // 00000000230C: 680C0C19
	v_and_b32_e32 v26, 15, v0                                  // 000000002310: 2634008F
	v_lshlrev_b32_e32 v26, 2, v26                              // 000000002314: 24343482
	s_sub_i32 s25, s34, 0x80                                   // 000000002318: 8199FF22 00000080
	v_cmp_lt_u32_e64 s[30:31], v26, s25                        // 000000002320: D0C9001E 0000331A
	v_and_b32_e32 v26, 15, v0                                  // 000000002328: 2634008F
	v_lshrrev_b32_e32 v26, 1, v26                              // 00000000232C: 20343481
	v_lshlrev_b32_e32 v26, 3, v26                              // 000000002330: 24343483
	s_sub_i32 s25, s34, 0x80                                   // 000000002334: 8199FF22 00000080
	v_cmp_lt_u32_e64 s[32:33], v26, s25                        // 00000000233C: D0C90020 0000331A
	v_mov_b32_e32 v30, 0xffff0000                              // 000000002344: 7E3C02FF FFFF0000
	v_mov_b32_e32 v31, 0x7fff0000                              // 00000000234C: 7E3E02FF 7FFF0000
	v_mov_b32_e32 v32, 0x7fff                                  // 000000002354: 7E4002FF 00007FFF
	s_mul_i32 s25, s8, 0                                       // 00000000235C: 92198008
	s_lshl_b32 s25, s25, 2                                     // 000000002360: 8E198219
	v_add_u32_e32 v5, s25, v4                                  // 000000002364: 680A0819
	buffer_load_dwordx4 v[8:11], v5, s[12:15], 0 offen         // 000000002368: E05C1000 80030805
	v_add_u32_e32 v5, 0x100, v5                                // 000000002370: 680A0AFF 00000100
	s_waitcnt vmcnt(0) expcnt(0) lgkmcnt(0)                    // 000000002378: BF8C0000
	s_barrier                                                  // 00000000237C: BF8A0000
	v_cmp_u_f32_e64 s[36:37], v8, v8                           // 000000002380: D0480024 00021108
	v_bfe_u32 v29, v8, 16, 1                                   // 000000002388: D1C8001D 02052108
	v_add3_u32 v29, v8, v29, v32                               // 000000002390: D1FF001D 04823B08
	v_cndmask_b32_e64 v26, v29, v31, s[36:37]                  // 000000002398: D100001A 00923F1D
	v_lshrrev_b32_e32 v26, 16, v26                             // 0000000023A0: 20343490
	v_cmp_u_f32_e64 s[36:37], v9, v9                           // 0000000023A4: D0480024 00021309
	v_bfe_u32 v29, v9, 16, 1                                   // 0000000023AC: D1C8001D 02052109
	v_add3_u32 v29, v9, v29, v32                               // 0000000023B4: D1FF001D 04823B09
	v_cndmask_b32_e64 v27, v29, v31, s[36:37]                  // 0000000023BC: D100001B 00923F1D
	v_and_or_b32 v20, v27, v30, v26                            // 0000000023C4: D2010014 046A3D1B
	v_cmp_u_f32_e64 s[36:37], v10, v10                         // 0000000023CC: D0480024 0002150A
	v_bfe_u32 v29, v10, 16, 1                                  // 0000000023D4: D1C8001D 0205210A
	v_add3_u32 v29, v10, v29, v32                              // 0000000023DC: D1FF001D 04823B0A
	v_cndmask_b32_e64 v26, v29, v31, s[36:37]                  // 0000000023E4: D100001A 00923F1D
	v_lshrrev_b32_e32 v26, 16, v26                             // 0000000023EC: 20343490
	v_cmp_u_f32_e64 s[36:37], v11, v11                         // 0000000023F0: D0480024 0002170B
	v_bfe_u32 v29, v11, 16, 1                                  // 0000000023F8: D1C8001D 0205210B
	v_add3_u32 v29, v11, v29, v32                              // 000000002400: D1FF001D 04823B0B
	v_cndmask_b32_e64 v27, v29, v31, s[36:37]                  // 000000002408: D100001B 00923F1D
	v_and_or_b32 v21, v27, v30, v26                            // 000000002410: D2010015 046A3D1B
	s_nop 1                                                    // 000000002418: BF800001
	s_mul_i32 s25, s24, 0x100                                  // 00000000241C: 9219FF18 00000100
	s_lshl_b32 s25, s25, 2                                     // 000000002424: 8E198219
	v_mov_b32_e32 v26, v0                                      // 000000002428: 7E340300
	v_lshlrev_b32_e32 v26, 2, v26                              // 00000000242C: 24343482
	v_add_u32_e64 v26, v26, s25                                // 000000002430: D134001A 0000331A
	v_add_u32_e32 v27, 0x100, v26                              // 000000002438: 683634FF 00000100
	ds_write_b32 v26, v20                                      // 000000002440: D81A0000 0000141A
	ds_write_b32 v27, v21                                      // 000000002448: D81A0000 0000151B
	s_barrier                                                  // 000000002450: BF8A0000
	v_lshrrev_b32_e32 v26, 4, v0                               // 000000002454: 20340084
	v_and_b32_e64 v27, v26, 1                                  // 000000002458: D113001B 0001031A
	v_lshrrev_b32_e32 v28, 1, v26                              // 000000002460: 20383481
	v_lshlrev_b32_e32 v26, 1, v27                              // 000000002464: 24343681
	v_add_u32_e32 v26, v26, v28                                // 000000002468: 6834391A
	v_lshlrev_b32_e32 v26, 7, v26                              // 00000000246C: 24343487
	v_and_b32_e64 v27, v0, 15                                  // 000000002470: D113001B 00011F00
	v_lshlrev_b32_e32 v27, 2, v27                              // 000000002478: 24363682
	v_add_u32_e32 v26, v27, v26                                // 00000000247C: 6834351B
	v_add_u32_e64 v26, v26, s25                                // 000000002480: D134001A 0000331A
	v_add_u32_e32 v27, 64, v26                                 // 000000002488: 683634C0
	ds_read_b32 v20, v26                                       // 00000000248C: D86C0000 1400001A
	ds_read_b32 v21, v27                                       // 000000002494: D86C0000 1500001B
	s_barrier                                                  // 00000000249C: BF8A0000
	s_nop 1                                                    // 0000000024A0: BF800001
	s_mul_i32 s25, s11, 0                                      // 0000000024A4: 9219800B
	s_lshl_b32 s25, s25, 2                                     // 0000000024A8: 8E198219
	s_lshl_b32 s26, 0, 7                                       // 0000000024AC: 8E1A8780
	v_add_u32_e32 v7, s25, v6                                  // 0000000024B0: 680E0C19
	v_add_u32_e32 v7, s26, v7                                  // 0000000024B4: 680E0E1A
	buffer_store_dword v20, v7, s[16:19], 0 offen              // 0000000024B8: E0701000 80041407
	v_add_u32_e32 v7, s11, v7                                  // 0000000024C0: 680E0E0B
	buffer_store_dword v21, v7, s[16:19], 0 offen              // 0000000024C4: E0701000 80041507
	buffer_load_dwordx4 v[12:15], v5, s[12:15], 0 offen        // 0000000024CC: E05C1000 80030C05
	v_add_u32_e32 v5, 0x100, v5                                // 0000000024D4: 680A0AFF 00000100
	s_waitcnt vmcnt(0) expcnt(0) lgkmcnt(0)                    // 0000000024DC: BF8C0000
	s_barrier                                                  // 0000000024E0: BF8A0000
	v_cmp_u_f32_e64 s[36:37], v12, v12                         // 0000000024E4: D0480024 0002190C
	v_bfe_u32 v29, v12, 16, 1                                  // 0000000024EC: D1C8001D 0205210C
	v_add3_u32 v29, v12, v29, v32                              // 0000000024F4: D1FF001D 04823B0C
	v_cndmask_b32_e64 v26, v29, v31, s[36:37]                  // 0000000024FC: D100001A 00923F1D
	v_lshrrev_b32_e32 v26, 16, v26                             // 000000002504: 20343490
	v_cmp_u_f32_e64 s[36:37], v13, v13                         // 000000002508: D0480024 00021B0D
	v_bfe_u32 v29, v13, 16, 1                                  // 000000002510: D1C8001D 0205210D
	v_add3_u32 v29, v13, v29, v32                              // 000000002518: D1FF001D 04823B0D
	v_cndmask_b32_e64 v27, v29, v31, s[36:37]                  // 000000002520: D100001B 00923F1D
	v_and_or_b32 v22, v27, v30, v26                            // 000000002528: D2010016 046A3D1B
	v_cmp_u_f32_e64 s[36:37], v14, v14                         // 000000002530: D0480024 00021D0E
	v_bfe_u32 v29, v14, 16, 1                                  // 000000002538: D1C8001D 0205210E
	v_add3_u32 v29, v14, v29, v32                              // 000000002540: D1FF001D 04823B0E
	v_cndmask_b32_e64 v26, v29, v31, s[36:37]                  // 000000002548: D100001A 00923F1D
	v_lshrrev_b32_e32 v26, 16, v26                             // 000000002550: 20343490
	v_cmp_u_f32_e64 s[36:37], v15, v15                         // 000000002554: D0480024 00021F0F
	v_bfe_u32 v29, v15, 16, 1                                  // 00000000255C: D1C8001D 0205210F
	v_add3_u32 v29, v15, v29, v32                              // 000000002564: D1FF001D 04823B0F
	v_cndmask_b32_e64 v27, v29, v31, s[36:37]                  // 00000000256C: D100001B 00923F1D
	v_and_or_b32 v23, v27, v30, v26                            // 000000002574: D2010017 046A3D1B
	s_nop 1                                                    // 00000000257C: BF800001
	s_mul_i32 s25, s24, 0x100                                  // 000000002580: 9219FF18 00000100
	s_lshl_b32 s25, s25, 2                                     // 000000002588: 8E198219
	v_mov_b32_e32 v26, v0                                      // 00000000258C: 7E340300
	v_lshlrev_b32_e32 v26, 2, v26                              // 000000002590: 24343482
	v_add_u32_e64 v26, v26, s25                                // 000000002594: D134001A 0000331A
	v_add_u32_e32 v27, 0x100, v26                              // 00000000259C: 683634FF 00000100
	ds_write_b32 v26, v22                                      // 0000000025A4: D81A0000 0000161A
	ds_write_b32 v27, v23                                      // 0000000025AC: D81A0000 0000171B
	s_barrier                                                  // 0000000025B4: BF8A0000
	v_lshrrev_b32_e32 v26, 4, v0                               // 0000000025B8: 20340084
	v_and_b32_e64 v27, v26, 1                                  // 0000000025BC: D113001B 0001031A
	v_lshrrev_b32_e32 v28, 1, v26                              // 0000000025C4: 20383481
	v_lshlrev_b32_e32 v26, 1, v27                              // 0000000025C8: 24343681
	v_add_u32_e32 v26, v26, v28                                // 0000000025CC: 6834391A
	v_lshlrev_b32_e32 v26, 7, v26                              // 0000000025D0: 24343487
	v_and_b32_e64 v27, v0, 15                                  // 0000000025D4: D113001B 00011F00
	v_lshlrev_b32_e32 v27, 2, v27                              // 0000000025DC: 24363682
	v_add_u32_e32 v26, v27, v26                                // 0000000025E0: 6834351B
	v_add_u32_e64 v26, v26, s25                                // 0000000025E4: D134001A 0000331A
	v_add_u32_e32 v27, 64, v26                                 // 0000000025EC: 683634C0
	ds_read_b32 v22, v26                                       // 0000000025F0: D86C0000 1600001A
	ds_read_b32 v23, v27                                       // 0000000025F8: D86C0000 1700001B
	s_barrier                                                  // 000000002600: BF8A0000
	s_nop 1                                                    // 000000002604: BF800001
	s_mul_i32 s25, s11, 0                                      // 000000002608: 9219800B
	s_lshl_b32 s25, s25, 2                                     // 00000000260C: 8E198219
	s_lshl_b32 s26, 1, 7                                       // 000000002610: 8E1A8781
	v_add_u32_e32 v7, s25, v6                                  // 000000002614: 680E0C19
	v_add_u32_e32 v7, s26, v7                                  // 000000002618: 680E0E1A
	buffer_store_dword v22, v7, s[16:19], 0 offen              // 00000000261C: E0701000 80041607
	v_add_u32_e32 v7, s11, v7                                  // 000000002624: 680E0E0B
	buffer_store_dword v23, v7, s[16:19], 0 offen              // 000000002628: E0701000 80041707
	v_mov_b32_e32 v16, 0                                       // 000000002630: 7E200280
	v_mov_b32_e32 v17, 0                                       // 000000002634: 7E220280
	v_mov_b32_e32 v18, 0                                       // 000000002638: 7E240280
	v_mov_b32_e32 v19, 0                                       // 00000000263C: 7E260280
	s_mov_b64 exec, s[30:31]                                   // 000000002640: BEFE011E
	buffer_load_dwordx4 v[16:19], v5, s[12:15], 0 offen        // 000000002644: E05C1000 80031005
	s_mov_b64 exec, -1                                         // 00000000264C: BEFE01C1
	v_add_u32_e32 v5, 0x100, v5                                // 000000002650: 680A0AFF 00000100
	s_waitcnt vmcnt(0) expcnt(0) lgkmcnt(0)                    // 000000002658: BF8C0000
	s_barrier                                                  // 00000000265C: BF8A0000
	v_cmp_u_f32_e64 s[36:37], v16, v16                         // 000000002660: D0480024 00022110
	v_bfe_u32 v29, v16, 16, 1                                  // 000000002668: D1C8001D 02052110
	v_add3_u32 v29, v16, v29, v32                              // 000000002670: D1FF001D 04823B10
	v_cndmask_b32_e64 v26, v29, v31, s[36:37]                  // 000000002678: D100001A 00923F1D
	v_lshrrev_b32_e32 v26, 16, v26                             // 000000002680: 20343490
	v_cmp_u_f32_e64 s[36:37], v17, v17                         // 000000002684: D0480024 00022311
	v_bfe_u32 v29, v17, 16, 1                                  // 00000000268C: D1C8001D 02052111
	v_add3_u32 v29, v17, v29, v32                              // 000000002694: D1FF001D 04823B11
	v_cndmask_b32_e64 v27, v29, v31, s[36:37]                  // 00000000269C: D100001B 00923F1D
	v_and_or_b32 v24, v27, v30, v26                            // 0000000026A4: D2010018 046A3D1B
	v_cmp_u_f32_e64 s[36:37], v18, v18                         // 0000000026AC: D0480024 00022512
	v_bfe_u32 v29, v18, 16, 1                                  // 0000000026B4: D1C8001D 02052112
	v_add3_u32 v29, v18, v29, v32                              // 0000000026BC: D1FF001D 04823B12
	v_cndmask_b32_e64 v26, v29, v31, s[36:37]                  // 0000000026C4: D100001A 00923F1D
	v_lshrrev_b32_e32 v26, 16, v26                             // 0000000026CC: 20343490
	v_cmp_u_f32_e64 s[36:37], v19, v19                         // 0000000026D0: D0480024 00022713
	v_bfe_u32 v29, v19, 16, 1                                  // 0000000026D8: D1C8001D 02052113
	v_add3_u32 v29, v19, v29, v32                              // 0000000026E0: D1FF001D 04823B13
	v_cndmask_b32_e64 v27, v29, v31, s[36:37]                  // 0000000026E8: D100001B 00923F1D
	v_and_or_b32 v25, v27, v30, v26                            // 0000000026F0: D2010019 046A3D1B
	s_nop 1                                                    // 0000000026F8: BF800001
	s_mul_i32 s25, s24, 0x100                                  // 0000000026FC: 9219FF18 00000100
	s_lshl_b32 s25, s25, 2                                     // 000000002704: 8E198219
	v_mov_b32_e32 v26, v0                                      // 000000002708: 7E340300
	v_lshlrev_b32_e32 v26, 2, v26                              // 00000000270C: 24343482
	v_add_u32_e64 v26, v26, s25                                // 000000002710: D134001A 0000331A
	v_add_u32_e32 v27, 0x100, v26                              // 000000002718: 683634FF 00000100
	ds_write_b32 v26, v24                                      // 000000002720: D81A0000 0000181A
	ds_write_b32 v27, v25                                      // 000000002728: D81A0000 0000191B
	s_barrier                                                  // 000000002730: BF8A0000
	v_lshrrev_b32_e32 v26, 4, v0                               // 000000002734: 20340084
	v_and_b32_e64 v27, v26, 1                                  // 000000002738: D113001B 0001031A
	v_lshrrev_b32_e32 v28, 1, v26                              // 000000002740: 20383481
	v_lshlrev_b32_e32 v26, 1, v27                              // 000000002744: 24343681
	v_add_u32_e32 v26, v26, v28                                // 000000002748: 6834391A
	v_lshlrev_b32_e32 v26, 7, v26                              // 00000000274C: 24343487
	v_and_b32_e64 v27, v0, 15                                  // 000000002750: D113001B 00011F00
	v_lshlrev_b32_e32 v27, 2, v27                              // 000000002758: 24363682
	v_add_u32_e32 v26, v27, v26                                // 00000000275C: 6834351B
	v_add_u32_e64 v26, v26, s25                                // 000000002760: D134001A 0000331A
	v_add_u32_e32 v27, 64, v26                                 // 000000002768: 683634C0
	ds_read_b32 v24, v26                                       // 00000000276C: D86C0000 1800001A
	ds_read_b32 v25, v27                                       // 000000002774: D86C0000 1900001B
	s_barrier                                                  // 00000000277C: BF8A0000
	s_nop 1                                                    // 000000002780: BF800001
	s_mul_i32 s25, s11, 0                                      // 000000002784: 9219800B
	s_lshl_b32 s25, s25, 2                                     // 000000002788: 8E198219
	s_lshl_b32 s26, 2, 7                                       // 00000000278C: 8E1A8782
	v_add_u32_e32 v7, s25, v6                                  // 000000002790: 680E0C19
	v_add_u32_e32 v7, s26, v7                                  // 000000002794: 680E0E1A
	s_mov_b64 exec, s[32:33]                                   // 000000002798: BEFE0120
	buffer_store_dword v24, v7, s[16:19], 0 offen              // 00000000279C: E0701000 80041807
	v_add_u32_e32 v7, s11, v7                                  // 0000000027A4: 680E0E0B
	buffer_store_dword v25, v7, s[16:19], 0 offen              // 0000000027A8: E0701000 80041907
	s_mov_b64 exec, -1                                         // 0000000027B0: BEFE01C1
	s_mul_i32 s25, s8, 1                                       // 0000000027B4: 92198108
	s_lshl_b32 s25, s25, 2                                     // 0000000027B8: 8E198219
	v_add_u32_e32 v5, s25, v4                                  // 0000000027BC: 680A0819
	buffer_load_dwordx4 v[8:11], v5, s[12:15], 0 offen         // 0000000027C0: E05C1000 80030805
	v_add_u32_e32 v5, 0x100, v5                                // 0000000027C8: 680A0AFF 00000100
	s_waitcnt vmcnt(0) expcnt(0) lgkmcnt(0)                    // 0000000027D0: BF8C0000
	s_barrier                                                  // 0000000027D4: BF8A0000
	v_cmp_u_f32_e64 s[36:37], v8, v8                           // 0000000027D8: D0480024 00021108
	v_bfe_u32 v29, v8, 16, 1                                   // 0000000027E0: D1C8001D 02052108
	v_add3_u32 v29, v8, v29, v32                               // 0000000027E8: D1FF001D 04823B08
	v_cndmask_b32_e64 v26, v29, v31, s[36:37]                  // 0000000027F0: D100001A 00923F1D
	v_lshrrev_b32_e32 v26, 16, v26                             // 0000000027F8: 20343490
	v_cmp_u_f32_e64 s[36:37], v9, v9                           // 0000000027FC: D0480024 00021309
	v_bfe_u32 v29, v9, 16, 1                                   // 000000002804: D1C8001D 02052109
	v_add3_u32 v29, v9, v29, v32                               // 00000000280C: D1FF001D 04823B09
	v_cndmask_b32_e64 v27, v29, v31, s[36:37]                  // 000000002814: D100001B 00923F1D
	v_and_or_b32 v20, v27, v30, v26                            // 00000000281C: D2010014 046A3D1B
	v_cmp_u_f32_e64 s[36:37], v10, v10                         // 000000002824: D0480024 0002150A
	v_bfe_u32 v29, v10, 16, 1                                  // 00000000282C: D1C8001D 0205210A
	v_add3_u32 v29, v10, v29, v32                              // 000000002834: D1FF001D 04823B0A
	v_cndmask_b32_e64 v26, v29, v31, s[36:37]                  // 00000000283C: D100001A 00923F1D
	v_lshrrev_b32_e32 v26, 16, v26                             // 000000002844: 20343490
	v_cmp_u_f32_e64 s[36:37], v11, v11                         // 000000002848: D0480024 0002170B
	v_bfe_u32 v29, v11, 16, 1                                  // 000000002850: D1C8001D 0205210B
	v_add3_u32 v29, v11, v29, v32                              // 000000002858: D1FF001D 04823B0B
	v_cndmask_b32_e64 v27, v29, v31, s[36:37]                  // 000000002860: D100001B 00923F1D
	v_and_or_b32 v21, v27, v30, v26                            // 000000002868: D2010015 046A3D1B
	s_nop 1                                                    // 000000002870: BF800001
	s_mul_i32 s25, s24, 0x100                                  // 000000002874: 9219FF18 00000100
	s_lshl_b32 s25, s25, 2                                     // 00000000287C: 8E198219
	v_mov_b32_e32 v26, v0                                      // 000000002880: 7E340300
	v_lshlrev_b32_e32 v26, 2, v26                              // 000000002884: 24343482
	v_add_u32_e64 v26, v26, s25                                // 000000002888: D134001A 0000331A
	v_add_u32_e32 v27, 0x100, v26                              // 000000002890: 683634FF 00000100
	ds_write_b32 v26, v20                                      // 000000002898: D81A0000 0000141A
	ds_write_b32 v27, v21                                      // 0000000028A0: D81A0000 0000151B
	s_barrier                                                  // 0000000028A8: BF8A0000
	v_lshrrev_b32_e32 v26, 4, v0                               // 0000000028AC: 20340084
	v_and_b32_e64 v27, v26, 1                                  // 0000000028B0: D113001B 0001031A
	v_lshrrev_b32_e32 v28, 1, v26                              // 0000000028B8: 20383481
	v_lshlrev_b32_e32 v26, 1, v27                              // 0000000028BC: 24343681
	v_add_u32_e32 v26, v26, v28                                // 0000000028C0: 6834391A
	v_lshlrev_b32_e32 v26, 7, v26                              // 0000000028C4: 24343487
	v_and_b32_e64 v27, v0, 15                                  // 0000000028C8: D113001B 00011F00
	v_lshlrev_b32_e32 v27, 2, v27                              // 0000000028D0: 24363682
	v_add_u32_e32 v26, v27, v26                                // 0000000028D4: 6834351B
	v_add_u32_e64 v26, v26, s25                                // 0000000028D8: D134001A 0000331A
	v_add_u32_e32 v27, 64, v26                                 // 0000000028E0: 683634C0
	ds_read_b32 v20, v26                                       // 0000000028E4: D86C0000 1400001A
	ds_read_b32 v21, v27                                       // 0000000028EC: D86C0000 1500001B
	s_barrier                                                  // 0000000028F4: BF8A0000
	s_nop 1                                                    // 0000000028F8: BF800001
	s_mul_i32 s25, s11, 1                                      // 0000000028FC: 9219810B
	s_lshl_b32 s25, s25, 2                                     // 000000002900: 8E198219
	s_lshl_b32 s26, 0, 7                                       // 000000002904: 8E1A8780
	v_add_u32_e32 v7, s25, v6                                  // 000000002908: 680E0C19
	v_add_u32_e32 v7, s26, v7                                  // 00000000290C: 680E0E1A
	buffer_store_dword v20, v7, s[16:19], 0 offen              // 000000002910: E0701000 80041407
	v_add_u32_e32 v7, s11, v7                                  // 000000002918: 680E0E0B
	buffer_store_dword v21, v7, s[16:19], 0 offen              // 00000000291C: E0701000 80041507
	buffer_load_dwordx4 v[12:15], v5, s[12:15], 0 offen        // 000000002924: E05C1000 80030C05
	v_add_u32_e32 v5, 0x100, v5                                // 00000000292C: 680A0AFF 00000100
	s_waitcnt vmcnt(0) expcnt(0) lgkmcnt(0)                    // 000000002934: BF8C0000
	s_barrier                                                  // 000000002938: BF8A0000
	v_cmp_u_f32_e64 s[36:37], v12, v12                         // 00000000293C: D0480024 0002190C
	v_bfe_u32 v29, v12, 16, 1                                  // 000000002944: D1C8001D 0205210C
	v_add3_u32 v29, v12, v29, v32                              // 00000000294C: D1FF001D 04823B0C
	v_cndmask_b32_e64 v26, v29, v31, s[36:37]                  // 000000002954: D100001A 00923F1D
	v_lshrrev_b32_e32 v26, 16, v26                             // 00000000295C: 20343490
	v_cmp_u_f32_e64 s[36:37], v13, v13                         // 000000002960: D0480024 00021B0D
	v_bfe_u32 v29, v13, 16, 1                                  // 000000002968: D1C8001D 0205210D
	v_add3_u32 v29, v13, v29, v32                              // 000000002970: D1FF001D 04823B0D
	v_cndmask_b32_e64 v27, v29, v31, s[36:37]                  // 000000002978: D100001B 00923F1D
	v_and_or_b32 v22, v27, v30, v26                            // 000000002980: D2010016 046A3D1B
	v_cmp_u_f32_e64 s[36:37], v14, v14                         // 000000002988: D0480024 00021D0E
	v_bfe_u32 v29, v14, 16, 1                                  // 000000002990: D1C8001D 0205210E
	v_add3_u32 v29, v14, v29, v32                              // 000000002998: D1FF001D 04823B0E
	v_cndmask_b32_e64 v26, v29, v31, s[36:37]                  // 0000000029A0: D100001A 00923F1D
	v_lshrrev_b32_e32 v26, 16, v26                             // 0000000029A8: 20343490
	v_cmp_u_f32_e64 s[36:37], v15, v15                         // 0000000029AC: D0480024 00021F0F
	v_bfe_u32 v29, v15, 16, 1                                  // 0000000029B4: D1C8001D 0205210F
	v_add3_u32 v29, v15, v29, v32                              // 0000000029BC: D1FF001D 04823B0F
	v_cndmask_b32_e64 v27, v29, v31, s[36:37]                  // 0000000029C4: D100001B 00923F1D
	v_and_or_b32 v23, v27, v30, v26                            // 0000000029CC: D2010017 046A3D1B
	s_nop 1                                                    // 0000000029D4: BF800001
	s_mul_i32 s25, s24, 0x100                                  // 0000000029D8: 9219FF18 00000100
	s_lshl_b32 s25, s25, 2                                     // 0000000029E0: 8E198219
	v_mov_b32_e32 v26, v0                                      // 0000000029E4: 7E340300
	v_lshlrev_b32_e32 v26, 2, v26                              // 0000000029E8: 24343482
	v_add_u32_e64 v26, v26, s25                                // 0000000029EC: D134001A 0000331A
	v_add_u32_e32 v27, 0x100, v26                              // 0000000029F4: 683634FF 00000100
	ds_write_b32 v26, v22                                      // 0000000029FC: D81A0000 0000161A
	ds_write_b32 v27, v23                                      // 000000002A04: D81A0000 0000171B
	s_barrier                                                  // 000000002A0C: BF8A0000
	v_lshrrev_b32_e32 v26, 4, v0                               // 000000002A10: 20340084
	v_and_b32_e64 v27, v26, 1                                  // 000000002A14: D113001B 0001031A
	v_lshrrev_b32_e32 v28, 1, v26                              // 000000002A1C: 20383481
	v_lshlrev_b32_e32 v26, 1, v27                              // 000000002A20: 24343681
	v_add_u32_e32 v26, v26, v28                                // 000000002A24: 6834391A
	v_lshlrev_b32_e32 v26, 7, v26                              // 000000002A28: 24343487
	v_and_b32_e64 v27, v0, 15                                  // 000000002A2C: D113001B 00011F00
	v_lshlrev_b32_e32 v27, 2, v27                              // 000000002A34: 24363682
	v_add_u32_e32 v26, v27, v26                                // 000000002A38: 6834351B
	v_add_u32_e64 v26, v26, s25                                // 000000002A3C: D134001A 0000331A
	v_add_u32_e32 v27, 64, v26                                 // 000000002A44: 683634C0
	ds_read_b32 v22, v26                                       // 000000002A48: D86C0000 1600001A
	ds_read_b32 v23, v27                                       // 000000002A50: D86C0000 1700001B
	s_barrier                                                  // 000000002A58: BF8A0000
	s_nop 1                                                    // 000000002A5C: BF800001
	s_mul_i32 s25, s11, 1                                      // 000000002A60: 9219810B
	s_lshl_b32 s25, s25, 2                                     // 000000002A64: 8E198219
	s_lshl_b32 s26, 1, 7                                       // 000000002A68: 8E1A8781
	v_add_u32_e32 v7, s25, v6                                  // 000000002A6C: 680E0C19
	v_add_u32_e32 v7, s26, v7                                  // 000000002A70: 680E0E1A
	buffer_store_dword v22, v7, s[16:19], 0 offen              // 000000002A74: E0701000 80041607
	v_add_u32_e32 v7, s11, v7                                  // 000000002A7C: 680E0E0B
	buffer_store_dword v23, v7, s[16:19], 0 offen              // 000000002A80: E0701000 80041707
	v_mov_b32_e32 v16, 0                                       // 000000002A88: 7E200280
	v_mov_b32_e32 v17, 0                                       // 000000002A8C: 7E220280
	v_mov_b32_e32 v18, 0                                       // 000000002A90: 7E240280
	v_mov_b32_e32 v19, 0                                       // 000000002A94: 7E260280
	s_mov_b64 exec, s[30:31]                                   // 000000002A98: BEFE011E
	buffer_load_dwordx4 v[16:19], v5, s[12:15], 0 offen        // 000000002A9C: E05C1000 80031005
	s_mov_b64 exec, -1                                         // 000000002AA4: BEFE01C1
	v_add_u32_e32 v5, 0x100, v5                                // 000000002AA8: 680A0AFF 00000100
	s_waitcnt vmcnt(0) expcnt(0) lgkmcnt(0)                    // 000000002AB0: BF8C0000
	s_barrier                                                  // 000000002AB4: BF8A0000
	v_cmp_u_f32_e64 s[36:37], v16, v16                         // 000000002AB8: D0480024 00022110
	v_bfe_u32 v29, v16, 16, 1                                  // 000000002AC0: D1C8001D 02052110
	v_add3_u32 v29, v16, v29, v32                              // 000000002AC8: D1FF001D 04823B10
	v_cndmask_b32_e64 v26, v29, v31, s[36:37]                  // 000000002AD0: D100001A 00923F1D
	v_lshrrev_b32_e32 v26, 16, v26                             // 000000002AD8: 20343490
	v_cmp_u_f32_e64 s[36:37], v17, v17                         // 000000002ADC: D0480024 00022311
	v_bfe_u32 v29, v17, 16, 1                                  // 000000002AE4: D1C8001D 02052111
	v_add3_u32 v29, v17, v29, v32                              // 000000002AEC: D1FF001D 04823B11
	v_cndmask_b32_e64 v27, v29, v31, s[36:37]                  // 000000002AF4: D100001B 00923F1D
	v_and_or_b32 v24, v27, v30, v26                            // 000000002AFC: D2010018 046A3D1B
	v_cmp_u_f32_e64 s[36:37], v18, v18                         // 000000002B04: D0480024 00022512
	v_bfe_u32 v29, v18, 16, 1                                  // 000000002B0C: D1C8001D 02052112
	v_add3_u32 v29, v18, v29, v32                              // 000000002B14: D1FF001D 04823B12
	v_cndmask_b32_e64 v26, v29, v31, s[36:37]                  // 000000002B1C: D100001A 00923F1D
	v_lshrrev_b32_e32 v26, 16, v26                             // 000000002B24: 20343490
	v_cmp_u_f32_e64 s[36:37], v19, v19                         // 000000002B28: D0480024 00022713
	v_bfe_u32 v29, v19, 16, 1                                  // 000000002B30: D1C8001D 02052113
	v_add3_u32 v29, v19, v29, v32                              // 000000002B38: D1FF001D 04823B13
	v_cndmask_b32_e64 v27, v29, v31, s[36:37]                  // 000000002B40: D100001B 00923F1D
	v_and_or_b32 v25, v27, v30, v26                            // 000000002B48: D2010019 046A3D1B
	s_nop 1                                                    // 000000002B50: BF800001
	s_mul_i32 s25, s24, 0x100                                  // 000000002B54: 9219FF18 00000100
	s_lshl_b32 s25, s25, 2                                     // 000000002B5C: 8E198219
	v_mov_b32_e32 v26, v0                                      // 000000002B60: 7E340300
	v_lshlrev_b32_e32 v26, 2, v26                              // 000000002B64: 24343482
	v_add_u32_e64 v26, v26, s25                                // 000000002B68: D134001A 0000331A
	v_add_u32_e32 v27, 0x100, v26                              // 000000002B70: 683634FF 00000100
	ds_write_b32 v26, v24                                      // 000000002B78: D81A0000 0000181A
	ds_write_b32 v27, v25                                      // 000000002B80: D81A0000 0000191B
	s_barrier                                                  // 000000002B88: BF8A0000
	v_lshrrev_b32_e32 v26, 4, v0                               // 000000002B8C: 20340084
	v_and_b32_e64 v27, v26, 1                                  // 000000002B90: D113001B 0001031A
	v_lshrrev_b32_e32 v28, 1, v26                              // 000000002B98: 20383481
	v_lshlrev_b32_e32 v26, 1, v27                              // 000000002B9C: 24343681
	v_add_u32_e32 v26, v26, v28                                // 000000002BA0: 6834391A
	v_lshlrev_b32_e32 v26, 7, v26                              // 000000002BA4: 24343487
	v_and_b32_e64 v27, v0, 15                                  // 000000002BA8: D113001B 00011F00
	v_lshlrev_b32_e32 v27, 2, v27                              // 000000002BB0: 24363682
	v_add_u32_e32 v26, v27, v26                                // 000000002BB4: 6834351B
	v_add_u32_e64 v26, v26, s25                                // 000000002BB8: D134001A 0000331A
	v_add_u32_e32 v27, 64, v26                                 // 000000002BC0: 683634C0
	ds_read_b32 v24, v26                                       // 000000002BC4: D86C0000 1800001A
	ds_read_b32 v25, v27                                       // 000000002BCC: D86C0000 1900001B
	s_barrier                                                  // 000000002BD4: BF8A0000
	s_nop 1                                                    // 000000002BD8: BF800001
	s_mul_i32 s25, s11, 1                                      // 000000002BDC: 9219810B
	s_lshl_b32 s25, s25, 2                                     // 000000002BE0: 8E198219
	s_lshl_b32 s26, 2, 7                                       // 000000002BE4: 8E1A8782
	v_add_u32_e32 v7, s25, v6                                  // 000000002BE8: 680E0C19
	v_add_u32_e32 v7, s26, v7                                  // 000000002BEC: 680E0E1A
	s_mov_b64 exec, s[32:33]                                   // 000000002BF0: BEFE0120
	buffer_store_dword v24, v7, s[16:19], 0 offen              // 000000002BF4: E0701000 80041807
	v_add_u32_e32 v7, s11, v7                                  // 000000002BFC: 680E0E0B
	buffer_store_dword v25, v7, s[16:19], 0 offen              // 000000002C00: E0701000 80041907
	s_mov_b64 exec, -1                                         // 000000002C08: BEFE01C1
	s_mul_i32 s25, s8, 2                                       // 000000002C0C: 92198208
	s_lshl_b32 s25, s25, 2                                     // 000000002C10: 8E198219
	v_add_u32_e32 v5, s25, v4                                  // 000000002C14: 680A0819
	buffer_load_dwordx4 v[8:11], v5, s[12:15], 0 offen         // 000000002C18: E05C1000 80030805
	v_add_u32_e32 v5, 0x100, v5                                // 000000002C20: 680A0AFF 00000100
	s_waitcnt vmcnt(0) expcnt(0) lgkmcnt(0)                    // 000000002C28: BF8C0000
	s_barrier                                                  // 000000002C2C: BF8A0000
	v_cmp_u_f32_e64 s[36:37], v8, v8                           // 000000002C30: D0480024 00021108
	v_bfe_u32 v29, v8, 16, 1                                   // 000000002C38: D1C8001D 02052108
	v_add3_u32 v29, v8, v29, v32                               // 000000002C40: D1FF001D 04823B08
	v_cndmask_b32_e64 v26, v29, v31, s[36:37]                  // 000000002C48: D100001A 00923F1D
	v_lshrrev_b32_e32 v26, 16, v26                             // 000000002C50: 20343490
	v_cmp_u_f32_e64 s[36:37], v9, v9                           // 000000002C54: D0480024 00021309
	v_bfe_u32 v29, v9, 16, 1                                   // 000000002C5C: D1C8001D 02052109
	v_add3_u32 v29, v9, v29, v32                               // 000000002C64: D1FF001D 04823B09
	v_cndmask_b32_e64 v27, v29, v31, s[36:37]                  // 000000002C6C: D100001B 00923F1D
	v_and_or_b32 v20, v27, v30, v26                            // 000000002C74: D2010014 046A3D1B
	v_cmp_u_f32_e64 s[36:37], v10, v10                         // 000000002C7C: D0480024 0002150A
	v_bfe_u32 v29, v10, 16, 1                                  // 000000002C84: D1C8001D 0205210A
	v_add3_u32 v29, v10, v29, v32                              // 000000002C8C: D1FF001D 04823B0A
	v_cndmask_b32_e64 v26, v29, v31, s[36:37]                  // 000000002C94: D100001A 00923F1D
	v_lshrrev_b32_e32 v26, 16, v26                             // 000000002C9C: 20343490
	v_cmp_u_f32_e64 s[36:37], v11, v11                         // 000000002CA0: D0480024 0002170B
	v_bfe_u32 v29, v11, 16, 1                                  // 000000002CA8: D1C8001D 0205210B
	v_add3_u32 v29, v11, v29, v32                              // 000000002CB0: D1FF001D 04823B0B
	v_cndmask_b32_e64 v27, v29, v31, s[36:37]                  // 000000002CB8: D100001B 00923F1D
	v_and_or_b32 v21, v27, v30, v26                            // 000000002CC0: D2010015 046A3D1B
	s_nop 1                                                    // 000000002CC8: BF800001
	s_mul_i32 s25, s24, 0x100                                  // 000000002CCC: 9219FF18 00000100
	s_lshl_b32 s25, s25, 2                                     // 000000002CD4: 8E198219
	v_mov_b32_e32 v26, v0                                      // 000000002CD8: 7E340300
	v_lshlrev_b32_e32 v26, 2, v26                              // 000000002CDC: 24343482
	v_add_u32_e64 v26, v26, s25                                // 000000002CE0: D134001A 0000331A
	v_add_u32_e32 v27, 0x100, v26                              // 000000002CE8: 683634FF 00000100
	ds_write_b32 v26, v20                                      // 000000002CF0: D81A0000 0000141A
	ds_write_b32 v27, v21                                      // 000000002CF8: D81A0000 0000151B
	s_barrier                                                  // 000000002D00: BF8A0000
	v_lshrrev_b32_e32 v26, 4, v0                               // 000000002D04: 20340084
	v_and_b32_e64 v27, v26, 1                                  // 000000002D08: D113001B 0001031A
	v_lshrrev_b32_e32 v28, 1, v26                              // 000000002D10: 20383481
	v_lshlrev_b32_e32 v26, 1, v27                              // 000000002D14: 24343681
	v_add_u32_e32 v26, v26, v28                                // 000000002D18: 6834391A
	v_lshlrev_b32_e32 v26, 7, v26                              // 000000002D1C: 24343487
	v_and_b32_e64 v27, v0, 15                                  // 000000002D20: D113001B 00011F00
	v_lshlrev_b32_e32 v27, 2, v27                              // 000000002D28: 24363682
	v_add_u32_e32 v26, v27, v26                                // 000000002D2C: 6834351B
	v_add_u32_e64 v26, v26, s25                                // 000000002D30: D134001A 0000331A
	v_add_u32_e32 v27, 64, v26                                 // 000000002D38: 683634C0
	ds_read_b32 v20, v26                                       // 000000002D3C: D86C0000 1400001A
	ds_read_b32 v21, v27                                       // 000000002D44: D86C0000 1500001B
	s_barrier                                                  // 000000002D4C: BF8A0000
	s_nop 1                                                    // 000000002D50: BF800001
	s_mul_i32 s25, s11, 2                                      // 000000002D54: 9219820B
	s_lshl_b32 s25, s25, 2                                     // 000000002D58: 8E198219
	s_lshl_b32 s26, 0, 7                                       // 000000002D5C: 8E1A8780
	v_add_u32_e32 v7, s25, v6                                  // 000000002D60: 680E0C19
	v_add_u32_e32 v7, s26, v7                                  // 000000002D64: 680E0E1A
	buffer_store_dword v20, v7, s[16:19], 0 offen              // 000000002D68: E0701000 80041407
	v_add_u32_e32 v7, s11, v7                                  // 000000002D70: 680E0E0B
	buffer_store_dword v21, v7, s[16:19], 0 offen              // 000000002D74: E0701000 80041507
	buffer_load_dwordx4 v[12:15], v5, s[12:15], 0 offen        // 000000002D7C: E05C1000 80030C05
	v_add_u32_e32 v5, 0x100, v5                                // 000000002D84: 680A0AFF 00000100
	s_waitcnt vmcnt(0) expcnt(0) lgkmcnt(0)                    // 000000002D8C: BF8C0000
	s_barrier                                                  // 000000002D90: BF8A0000
	v_cmp_u_f32_e64 s[36:37], v12, v12                         // 000000002D94: D0480024 0002190C
	v_bfe_u32 v29, v12, 16, 1                                  // 000000002D9C: D1C8001D 0205210C
	v_add3_u32 v29, v12, v29, v32                              // 000000002DA4: D1FF001D 04823B0C
	v_cndmask_b32_e64 v26, v29, v31, s[36:37]                  // 000000002DAC: D100001A 00923F1D
	v_lshrrev_b32_e32 v26, 16, v26                             // 000000002DB4: 20343490
	v_cmp_u_f32_e64 s[36:37], v13, v13                         // 000000002DB8: D0480024 00021B0D
	v_bfe_u32 v29, v13, 16, 1                                  // 000000002DC0: D1C8001D 0205210D
	v_add3_u32 v29, v13, v29, v32                              // 000000002DC8: D1FF001D 04823B0D
	v_cndmask_b32_e64 v27, v29, v31, s[36:37]                  // 000000002DD0: D100001B 00923F1D
	v_and_or_b32 v22, v27, v30, v26                            // 000000002DD8: D2010016 046A3D1B
	v_cmp_u_f32_e64 s[36:37], v14, v14                         // 000000002DE0: D0480024 00021D0E
	v_bfe_u32 v29, v14, 16, 1                                  // 000000002DE8: D1C8001D 0205210E
	v_add3_u32 v29, v14, v29, v32                              // 000000002DF0: D1FF001D 04823B0E
	v_cndmask_b32_e64 v26, v29, v31, s[36:37]                  // 000000002DF8: D100001A 00923F1D
	v_lshrrev_b32_e32 v26, 16, v26                             // 000000002E00: 20343490
	v_cmp_u_f32_e64 s[36:37], v15, v15                         // 000000002E04: D0480024 00021F0F
	v_bfe_u32 v29, v15, 16, 1                                  // 000000002E0C: D1C8001D 0205210F
	v_add3_u32 v29, v15, v29, v32                              // 000000002E14: D1FF001D 04823B0F
	v_cndmask_b32_e64 v27, v29, v31, s[36:37]                  // 000000002E1C: D100001B 00923F1D
	v_and_or_b32 v23, v27, v30, v26                            // 000000002E24: D2010017 046A3D1B
	s_nop 1                                                    // 000000002E2C: BF800001
	s_mul_i32 s25, s24, 0x100                                  // 000000002E30: 9219FF18 00000100
	s_lshl_b32 s25, s25, 2                                     // 000000002E38: 8E198219
	v_mov_b32_e32 v26, v0                                      // 000000002E3C: 7E340300
	v_lshlrev_b32_e32 v26, 2, v26                              // 000000002E40: 24343482
	v_add_u32_e64 v26, v26, s25                                // 000000002E44: D134001A 0000331A
	v_add_u32_e32 v27, 0x100, v26                              // 000000002E4C: 683634FF 00000100
	ds_write_b32 v26, v22                                      // 000000002E54: D81A0000 0000161A
	ds_write_b32 v27, v23                                      // 000000002E5C: D81A0000 0000171B
	s_barrier                                                  // 000000002E64: BF8A0000
	v_lshrrev_b32_e32 v26, 4, v0                               // 000000002E68: 20340084
	v_and_b32_e64 v27, v26, 1                                  // 000000002E6C: D113001B 0001031A
	v_lshrrev_b32_e32 v28, 1, v26                              // 000000002E74: 20383481
	v_lshlrev_b32_e32 v26, 1, v27                              // 000000002E78: 24343681
	v_add_u32_e32 v26, v26, v28                                // 000000002E7C: 6834391A
	v_lshlrev_b32_e32 v26, 7, v26                              // 000000002E80: 24343487
	v_and_b32_e64 v27, v0, 15                                  // 000000002E84: D113001B 00011F00
	v_lshlrev_b32_e32 v27, 2, v27                              // 000000002E8C: 24363682
	v_add_u32_e32 v26, v27, v26                                // 000000002E90: 6834351B
	v_add_u32_e64 v26, v26, s25                                // 000000002E94: D134001A 0000331A
	v_add_u32_e32 v27, 64, v26                                 // 000000002E9C: 683634C0
	ds_read_b32 v22, v26                                       // 000000002EA0: D86C0000 1600001A
	ds_read_b32 v23, v27                                       // 000000002EA8: D86C0000 1700001B
	s_barrier                                                  // 000000002EB0: BF8A0000
	s_nop 1                                                    // 000000002EB4: BF800001
	s_mul_i32 s25, s11, 2                                      // 000000002EB8: 9219820B
	s_lshl_b32 s25, s25, 2                                     // 000000002EBC: 8E198219
	s_lshl_b32 s26, 1, 7                                       // 000000002EC0: 8E1A8781
	v_add_u32_e32 v7, s25, v6                                  // 000000002EC4: 680E0C19
	v_add_u32_e32 v7, s26, v7                                  // 000000002EC8: 680E0E1A
	buffer_store_dword v22, v7, s[16:19], 0 offen              // 000000002ECC: E0701000 80041607
	v_add_u32_e32 v7, s11, v7                                  // 000000002ED4: 680E0E0B
	buffer_store_dword v23, v7, s[16:19], 0 offen              // 000000002ED8: E0701000 80041707
	v_mov_b32_e32 v16, 0                                       // 000000002EE0: 7E200280
	v_mov_b32_e32 v17, 0                                       // 000000002EE4: 7E220280
	v_mov_b32_e32 v18, 0                                       // 000000002EE8: 7E240280
	v_mov_b32_e32 v19, 0                                       // 000000002EEC: 7E260280
	s_mov_b64 exec, s[30:31]                                   // 000000002EF0: BEFE011E
	buffer_load_dwordx4 v[16:19], v5, s[12:15], 0 offen        // 000000002EF4: E05C1000 80031005
	s_mov_b64 exec, -1                                         // 000000002EFC: BEFE01C1
	v_add_u32_e32 v5, 0x100, v5                                // 000000002F00: 680A0AFF 00000100
	s_waitcnt vmcnt(0) expcnt(0) lgkmcnt(0)                    // 000000002F08: BF8C0000
	s_barrier                                                  // 000000002F0C: BF8A0000
	v_cmp_u_f32_e64 s[36:37], v16, v16                         // 000000002F10: D0480024 00022110
	v_bfe_u32 v29, v16, 16, 1                                  // 000000002F18: D1C8001D 02052110
	v_add3_u32 v29, v16, v29, v32                              // 000000002F20: D1FF001D 04823B10
	v_cndmask_b32_e64 v26, v29, v31, s[36:37]                  // 000000002F28: D100001A 00923F1D
	v_lshrrev_b32_e32 v26, 16, v26                             // 000000002F30: 20343490
	v_cmp_u_f32_e64 s[36:37], v17, v17                         // 000000002F34: D0480024 00022311
	v_bfe_u32 v29, v17, 16, 1                                  // 000000002F3C: D1C8001D 02052111
	v_add3_u32 v29, v17, v29, v32                              // 000000002F44: D1FF001D 04823B11
	v_cndmask_b32_e64 v27, v29, v31, s[36:37]                  // 000000002F4C: D100001B 00923F1D
	v_and_or_b32 v24, v27, v30, v26                            // 000000002F54: D2010018 046A3D1B
	v_cmp_u_f32_e64 s[36:37], v18, v18                         // 000000002F5C: D0480024 00022512
	v_bfe_u32 v29, v18, 16, 1                                  // 000000002F64: D1C8001D 02052112
	v_add3_u32 v29, v18, v29, v32                              // 000000002F6C: D1FF001D 04823B12
	v_cndmask_b32_e64 v26, v29, v31, s[36:37]                  // 000000002F74: D100001A 00923F1D
	v_lshrrev_b32_e32 v26, 16, v26                             // 000000002F7C: 20343490
	v_cmp_u_f32_e64 s[36:37], v19, v19                         // 000000002F80: D0480024 00022713
	v_bfe_u32 v29, v19, 16, 1                                  // 000000002F88: D1C8001D 02052113
	v_add3_u32 v29, v19, v29, v32                              // 000000002F90: D1FF001D 04823B13
	v_cndmask_b32_e64 v27, v29, v31, s[36:37]                  // 000000002F98: D100001B 00923F1D
	v_and_or_b32 v25, v27, v30, v26                            // 000000002FA0: D2010019 046A3D1B
	s_nop 1                                                    // 000000002FA8: BF800001
	s_mul_i32 s25, s24, 0x100                                  // 000000002FAC: 9219FF18 00000100
	s_lshl_b32 s25, s25, 2                                     // 000000002FB4: 8E198219
	v_mov_b32_e32 v26, v0                                      // 000000002FB8: 7E340300
	v_lshlrev_b32_e32 v26, 2, v26                              // 000000002FBC: 24343482
	v_add_u32_e64 v26, v26, s25                                // 000000002FC0: D134001A 0000331A
	v_add_u32_e32 v27, 0x100, v26                              // 000000002FC8: 683634FF 00000100
	ds_write_b32 v26, v24                                      // 000000002FD0: D81A0000 0000181A
	ds_write_b32 v27, v25                                      // 000000002FD8: D81A0000 0000191B
	s_barrier                                                  // 000000002FE0: BF8A0000
	v_lshrrev_b32_e32 v26, 4, v0                               // 000000002FE4: 20340084
	v_and_b32_e64 v27, v26, 1                                  // 000000002FE8: D113001B 0001031A
	v_lshrrev_b32_e32 v28, 1, v26                              // 000000002FF0: 20383481
	v_lshlrev_b32_e32 v26, 1, v27                              // 000000002FF4: 24343681
	v_add_u32_e32 v26, v26, v28                                // 000000002FF8: 6834391A
	v_lshlrev_b32_e32 v26, 7, v26                              // 000000002FFC: 24343487
	v_and_b32_e64 v27, v0, 15                                  // 000000003000: D113001B 00011F00
	v_lshlrev_b32_e32 v27, 2, v27                              // 000000003008: 24363682
	v_add_u32_e32 v26, v27, v26                                // 00000000300C: 6834351B
	v_add_u32_e64 v26, v26, s25                                // 000000003010: D134001A 0000331A
	v_add_u32_e32 v27, 64, v26                                 // 000000003018: 683634C0
	ds_read_b32 v24, v26                                       // 00000000301C: D86C0000 1800001A
	ds_read_b32 v25, v27                                       // 000000003024: D86C0000 1900001B
	s_barrier                                                  // 00000000302C: BF8A0000
	s_nop 1                                                    // 000000003030: BF800001
	s_mul_i32 s25, s11, 2                                      // 000000003034: 9219820B
	s_lshl_b32 s25, s25, 2                                     // 000000003038: 8E198219
	s_lshl_b32 s26, 2, 7                                       // 00000000303C: 8E1A8782
	v_add_u32_e32 v7, s25, v6                                  // 000000003040: 680E0C19
	v_add_u32_e32 v7, s26, v7                                  // 000000003044: 680E0E1A
	s_mov_b64 exec, s[32:33]                                   // 000000003048: BEFE0120
	buffer_store_dword v24, v7, s[16:19], 0 offen              // 00000000304C: E0701000 80041807
	v_add_u32_e32 v7, s11, v7                                  // 000000003054: 680E0E0B
	buffer_store_dword v25, v7, s[16:19], 0 offen              // 000000003058: E0701000 80041907
	s_mov_b64 exec, -1                                         // 000000003060: BEFE01C1
	s_mul_i32 s25, s8, 3                                       // 000000003064: 92198308
	s_lshl_b32 s25, s25, 2                                     // 000000003068: 8E198219
	v_add_u32_e32 v5, s25, v4                                  // 00000000306C: 680A0819
	buffer_load_dwordx4 v[8:11], v5, s[12:15], 0 offen         // 000000003070: E05C1000 80030805
	v_add_u32_e32 v5, 0x100, v5                                // 000000003078: 680A0AFF 00000100
	s_waitcnt vmcnt(0) expcnt(0) lgkmcnt(0)                    // 000000003080: BF8C0000
	s_barrier                                                  // 000000003084: BF8A0000
	v_cmp_u_f32_e64 s[36:37], v8, v8                           // 000000003088: D0480024 00021108
	v_bfe_u32 v29, v8, 16, 1                                   // 000000003090: D1C8001D 02052108
	v_add3_u32 v29, v8, v29, v32                               // 000000003098: D1FF001D 04823B08
	v_cndmask_b32_e64 v26, v29, v31, s[36:37]                  // 0000000030A0: D100001A 00923F1D
	v_lshrrev_b32_e32 v26, 16, v26                             // 0000000030A8: 20343490
	v_cmp_u_f32_e64 s[36:37], v9, v9                           // 0000000030AC: D0480024 00021309
	v_bfe_u32 v29, v9, 16, 1                                   // 0000000030B4: D1C8001D 02052109
	v_add3_u32 v29, v9, v29, v32                               // 0000000030BC: D1FF001D 04823B09
	v_cndmask_b32_e64 v27, v29, v31, s[36:37]                  // 0000000030C4: D100001B 00923F1D
	v_and_or_b32 v20, v27, v30, v26                            // 0000000030CC: D2010014 046A3D1B
	v_cmp_u_f32_e64 s[36:37], v10, v10                         // 0000000030D4: D0480024 0002150A
	v_bfe_u32 v29, v10, 16, 1                                  // 0000000030DC: D1C8001D 0205210A
	v_add3_u32 v29, v10, v29, v32                              // 0000000030E4: D1FF001D 04823B0A
	v_cndmask_b32_e64 v26, v29, v31, s[36:37]                  // 0000000030EC: D100001A 00923F1D
	v_lshrrev_b32_e32 v26, 16, v26                             // 0000000030F4: 20343490
	v_cmp_u_f32_e64 s[36:37], v11, v11                         // 0000000030F8: D0480024 0002170B
	v_bfe_u32 v29, v11, 16, 1                                  // 000000003100: D1C8001D 0205210B
	v_add3_u32 v29, v11, v29, v32                              // 000000003108: D1FF001D 04823B0B
	v_cndmask_b32_e64 v27, v29, v31, s[36:37]                  // 000000003110: D100001B 00923F1D
	v_and_or_b32 v21, v27, v30, v26                            // 000000003118: D2010015 046A3D1B
	s_nop 1                                                    // 000000003120: BF800001
	s_mul_i32 s25, s24, 0x100                                  // 000000003124: 9219FF18 00000100
	s_lshl_b32 s25, s25, 2                                     // 00000000312C: 8E198219
	v_mov_b32_e32 v26, v0                                      // 000000003130: 7E340300
	v_lshlrev_b32_e32 v26, 2, v26                              // 000000003134: 24343482
	v_add_u32_e64 v26, v26, s25                                // 000000003138: D134001A 0000331A
	v_add_u32_e32 v27, 0x100, v26                              // 000000003140: 683634FF 00000100
	ds_write_b32 v26, v20                                      // 000000003148: D81A0000 0000141A
	ds_write_b32 v27, v21                                      // 000000003150: D81A0000 0000151B
	s_barrier                                                  // 000000003158: BF8A0000
	v_lshrrev_b32_e32 v26, 4, v0                               // 00000000315C: 20340084
	v_and_b32_e64 v27, v26, 1                                  // 000000003160: D113001B 0001031A
	v_lshrrev_b32_e32 v28, 1, v26                              // 000000003168: 20383481
	v_lshlrev_b32_e32 v26, 1, v27                              // 00000000316C: 24343681
	v_add_u32_e32 v26, v26, v28                                // 000000003170: 6834391A
	v_lshlrev_b32_e32 v26, 7, v26                              // 000000003174: 24343487
	v_and_b32_e64 v27, v0, 15                                  // 000000003178: D113001B 00011F00
	v_lshlrev_b32_e32 v27, 2, v27                              // 000000003180: 24363682
	v_add_u32_e32 v26, v27, v26                                // 000000003184: 6834351B
	v_add_u32_e64 v26, v26, s25                                // 000000003188: D134001A 0000331A
	v_add_u32_e32 v27, 64, v26                                 // 000000003190: 683634C0
	ds_read_b32 v20, v26                                       // 000000003194: D86C0000 1400001A
	ds_read_b32 v21, v27                                       // 00000000319C: D86C0000 1500001B
	s_barrier                                                  // 0000000031A4: BF8A0000
	s_nop 1                                                    // 0000000031A8: BF800001
	s_mul_i32 s25, s11, 3                                      // 0000000031AC: 9219830B
	s_lshl_b32 s25, s25, 2                                     // 0000000031B0: 8E198219
	s_lshl_b32 s26, 0, 7                                       // 0000000031B4: 8E1A8780
	v_add_u32_e32 v7, s25, v6                                  // 0000000031B8: 680E0C19
	v_add_u32_e32 v7, s26, v7                                  // 0000000031BC: 680E0E1A
	buffer_store_dword v20, v7, s[16:19], 0 offen              // 0000000031C0: E0701000 80041407
	v_add_u32_e32 v7, s11, v7                                  // 0000000031C8: 680E0E0B
	buffer_store_dword v21, v7, s[16:19], 0 offen              // 0000000031CC: E0701000 80041507
	buffer_load_dwordx4 v[12:15], v5, s[12:15], 0 offen        // 0000000031D4: E05C1000 80030C05
	v_add_u32_e32 v5, 0x100, v5                                // 0000000031DC: 680A0AFF 00000100
	s_waitcnt vmcnt(0) expcnt(0) lgkmcnt(0)                    // 0000000031E4: BF8C0000
	s_barrier                                                  // 0000000031E8: BF8A0000
	v_cmp_u_f32_e64 s[36:37], v12, v12                         // 0000000031EC: D0480024 0002190C
	v_bfe_u32 v29, v12, 16, 1                                  // 0000000031F4: D1C8001D 0205210C
	v_add3_u32 v29, v12, v29, v32                              // 0000000031FC: D1FF001D 04823B0C
	v_cndmask_b32_e64 v26, v29, v31, s[36:37]                  // 000000003204: D100001A 00923F1D
	v_lshrrev_b32_e32 v26, 16, v26                             // 00000000320C: 20343490
	v_cmp_u_f32_e64 s[36:37], v13, v13                         // 000000003210: D0480024 00021B0D
	v_bfe_u32 v29, v13, 16, 1                                  // 000000003218: D1C8001D 0205210D
	v_add3_u32 v29, v13, v29, v32                              // 000000003220: D1FF001D 04823B0D
	v_cndmask_b32_e64 v27, v29, v31, s[36:37]                  // 000000003228: D100001B 00923F1D
	v_and_or_b32 v22, v27, v30, v26                            // 000000003230: D2010016 046A3D1B
	v_cmp_u_f32_e64 s[36:37], v14, v14                         // 000000003238: D0480024 00021D0E
	v_bfe_u32 v29, v14, 16, 1                                  // 000000003240: D1C8001D 0205210E
	v_add3_u32 v29, v14, v29, v32                              // 000000003248: D1FF001D 04823B0E
	v_cndmask_b32_e64 v26, v29, v31, s[36:37]                  // 000000003250: D100001A 00923F1D
	v_lshrrev_b32_e32 v26, 16, v26                             // 000000003258: 20343490
	v_cmp_u_f32_e64 s[36:37], v15, v15                         // 00000000325C: D0480024 00021F0F
	v_bfe_u32 v29, v15, 16, 1                                  // 000000003264: D1C8001D 0205210F
	v_add3_u32 v29, v15, v29, v32                              // 00000000326C: D1FF001D 04823B0F
	v_cndmask_b32_e64 v27, v29, v31, s[36:37]                  // 000000003274: D100001B 00923F1D
	v_and_or_b32 v23, v27, v30, v26                            // 00000000327C: D2010017 046A3D1B
	s_nop 1                                                    // 000000003284: BF800001
	s_mul_i32 s25, s24, 0x100                                  // 000000003288: 9219FF18 00000100
	s_lshl_b32 s25, s25, 2                                     // 000000003290: 8E198219
	v_mov_b32_e32 v26, v0                                      // 000000003294: 7E340300
	v_lshlrev_b32_e32 v26, 2, v26                              // 000000003298: 24343482
	v_add_u32_e64 v26, v26, s25                                // 00000000329C: D134001A 0000331A
	v_add_u32_e32 v27, 0x100, v26                              // 0000000032A4: 683634FF 00000100
	ds_write_b32 v26, v22                                      // 0000000032AC: D81A0000 0000161A
	ds_write_b32 v27, v23                                      // 0000000032B4: D81A0000 0000171B
	s_barrier                                                  // 0000000032BC: BF8A0000
	v_lshrrev_b32_e32 v26, 4, v0                               // 0000000032C0: 20340084
	v_and_b32_e64 v27, v26, 1                                  // 0000000032C4: D113001B 0001031A
	v_lshrrev_b32_e32 v28, 1, v26                              // 0000000032CC: 20383481
	v_lshlrev_b32_e32 v26, 1, v27                              // 0000000032D0: 24343681
	v_add_u32_e32 v26, v26, v28                                // 0000000032D4: 6834391A
	v_lshlrev_b32_e32 v26, 7, v26                              // 0000000032D8: 24343487
	v_and_b32_e64 v27, v0, 15                                  // 0000000032DC: D113001B 00011F00
	v_lshlrev_b32_e32 v27, 2, v27                              // 0000000032E4: 24363682
	v_add_u32_e32 v26, v27, v26                                // 0000000032E8: 6834351B
	v_add_u32_e64 v26, v26, s25                                // 0000000032EC: D134001A 0000331A
	v_add_u32_e32 v27, 64, v26                                 // 0000000032F4: 683634C0
	ds_read_b32 v22, v26                                       // 0000000032F8: D86C0000 1600001A
	ds_read_b32 v23, v27                                       // 000000003300: D86C0000 1700001B
	s_barrier                                                  // 000000003308: BF8A0000
	s_nop 1                                                    // 00000000330C: BF800001
	s_mul_i32 s25, s11, 3                                      // 000000003310: 9219830B
	s_lshl_b32 s25, s25, 2                                     // 000000003314: 8E198219
	s_lshl_b32 s26, 1, 7                                       // 000000003318: 8E1A8781
	v_add_u32_e32 v7, s25, v6                                  // 00000000331C: 680E0C19
	v_add_u32_e32 v7, s26, v7                                  // 000000003320: 680E0E1A
	buffer_store_dword v22, v7, s[16:19], 0 offen              // 000000003324: E0701000 80041607
	v_add_u32_e32 v7, s11, v7                                  // 00000000332C: 680E0E0B
	buffer_store_dword v23, v7, s[16:19], 0 offen              // 000000003330: E0701000 80041707
	v_mov_b32_e32 v16, 0                                       // 000000003338: 7E200280
	v_mov_b32_e32 v17, 0                                       // 00000000333C: 7E220280
	v_mov_b32_e32 v18, 0                                       // 000000003340: 7E240280
	v_mov_b32_e32 v19, 0                                       // 000000003344: 7E260280
	s_mov_b64 exec, s[30:31]                                   // 000000003348: BEFE011E
	buffer_load_dwordx4 v[16:19], v5, s[12:15], 0 offen        // 00000000334C: E05C1000 80031005
	s_mov_b64 exec, -1                                         // 000000003354: BEFE01C1
	v_add_u32_e32 v5, 0x100, v5                                // 000000003358: 680A0AFF 00000100
	s_waitcnt vmcnt(0) expcnt(0) lgkmcnt(0)                    // 000000003360: BF8C0000
	s_barrier                                                  // 000000003364: BF8A0000
	v_cmp_u_f32_e64 s[36:37], v16, v16                         // 000000003368: D0480024 00022110
	v_bfe_u32 v29, v16, 16, 1                                  // 000000003370: D1C8001D 02052110
	v_add3_u32 v29, v16, v29, v32                              // 000000003378: D1FF001D 04823B10
	v_cndmask_b32_e64 v26, v29, v31, s[36:37]                  // 000000003380: D100001A 00923F1D
	v_lshrrev_b32_e32 v26, 16, v26                             // 000000003388: 20343490
	v_cmp_u_f32_e64 s[36:37], v17, v17                         // 00000000338C: D0480024 00022311
	v_bfe_u32 v29, v17, 16, 1                                  // 000000003394: D1C8001D 02052111
	v_add3_u32 v29, v17, v29, v32                              // 00000000339C: D1FF001D 04823B11
	v_cndmask_b32_e64 v27, v29, v31, s[36:37]                  // 0000000033A4: D100001B 00923F1D
	v_and_or_b32 v24, v27, v30, v26                            // 0000000033AC: D2010018 046A3D1B
	v_cmp_u_f32_e64 s[36:37], v18, v18                         // 0000000033B4: D0480024 00022512
	v_bfe_u32 v29, v18, 16, 1                                  // 0000000033BC: D1C8001D 02052112
	v_add3_u32 v29, v18, v29, v32                              // 0000000033C4: D1FF001D 04823B12
	v_cndmask_b32_e64 v26, v29, v31, s[36:37]                  // 0000000033CC: D100001A 00923F1D
	v_lshrrev_b32_e32 v26, 16, v26                             // 0000000033D4: 20343490
	v_cmp_u_f32_e64 s[36:37], v19, v19                         // 0000000033D8: D0480024 00022713
	v_bfe_u32 v29, v19, 16, 1                                  // 0000000033E0: D1C8001D 02052113
	v_add3_u32 v29, v19, v29, v32                              // 0000000033E8: D1FF001D 04823B13
	v_cndmask_b32_e64 v27, v29, v31, s[36:37]                  // 0000000033F0: D100001B 00923F1D
	v_and_or_b32 v25, v27, v30, v26                            // 0000000033F8: D2010019 046A3D1B
	s_nop 1                                                    // 000000003400: BF800001
	s_mul_i32 s25, s24, 0x100                                  // 000000003404: 9219FF18 00000100
	s_lshl_b32 s25, s25, 2                                     // 00000000340C: 8E198219
	v_mov_b32_e32 v26, v0                                      // 000000003410: 7E340300
	v_lshlrev_b32_e32 v26, 2, v26                              // 000000003414: 24343482
	v_add_u32_e64 v26, v26, s25                                // 000000003418: D134001A 0000331A
	v_add_u32_e32 v27, 0x100, v26                              // 000000003420: 683634FF 00000100
	ds_write_b32 v26, v24                                      // 000000003428: D81A0000 0000181A
	ds_write_b32 v27, v25                                      // 000000003430: D81A0000 0000191B
	s_barrier                                                  // 000000003438: BF8A0000
	v_lshrrev_b32_e32 v26, 4, v0                               // 00000000343C: 20340084
	v_and_b32_e64 v27, v26, 1                                  // 000000003440: D113001B 0001031A
	v_lshrrev_b32_e32 v28, 1, v26                              // 000000003448: 20383481
	v_lshlrev_b32_e32 v26, 1, v27                              // 00000000344C: 24343681
	v_add_u32_e32 v26, v26, v28                                // 000000003450: 6834391A
	v_lshlrev_b32_e32 v26, 7, v26                              // 000000003454: 24343487
	v_and_b32_e64 v27, v0, 15                                  // 000000003458: D113001B 00011F00
	v_lshlrev_b32_e32 v27, 2, v27                              // 000000003460: 24363682
	v_add_u32_e32 v26, v27, v26                                // 000000003464: 6834351B
	v_add_u32_e64 v26, v26, s25                                // 000000003468: D134001A 0000331A
	v_add_u32_e32 v27, 64, v26                                 // 000000003470: 683634C0
	ds_read_b32 v24, v26                                       // 000000003474: D86C0000 1800001A
	ds_read_b32 v25, v27                                       // 00000000347C: D86C0000 1900001B
	s_barrier                                                  // 000000003484: BF8A0000
	s_nop 1                                                    // 000000003488: BF800001
	s_mul_i32 s25, s11, 3                                      // 00000000348C: 9219830B
	s_lshl_b32 s25, s25, 2                                     // 000000003490: 8E198219
	s_lshl_b32 s26, 2, 7                                       // 000000003494: 8E1A8782
	v_add_u32_e32 v7, s25, v6                                  // 000000003498: 680E0C19
	v_add_u32_e32 v7, s26, v7                                  // 00000000349C: 680E0E1A
	s_mov_b64 exec, s[32:33]                                   // 0000000034A0: BEFE0120
	buffer_store_dword v24, v7, s[16:19], 0 offen              // 0000000034A4: E0701000 80041807
	v_add_u32_e32 v7, s11, v7                                  // 0000000034AC: 680E0E0B
	buffer_store_dword v25, v7, s[16:19], 0 offen              // 0000000034B0: E0701000 80041907
	s_mov_b64 exec, -1                                         // 0000000034B8: BEFE01C1

00000000000034bc <label_04EF>:
	s_waitcnt vmcnt(0) expcnt(0) lgkmcnt(0)                    // 0000000034BC: BF8C0000
	s_endpgm                                                   // 0000000034C0: BF810000
